;; amdgpu-corpus repo=zjin-lcf/HeCBench kind=compiled arch=gfx906 opt=O3
	.amdgcn_target "amdgcn-amd-amdhsa--gfx906"
	.amdhsa_code_object_version 6
	.text
	.protected	_Z11toneMappingPKfPfffffjjj ; -- Begin function _Z11toneMappingPKfPfffffjjj
	.globl	_Z11toneMappingPKfPfffffjjj
	.p2align	8
	.type	_Z11toneMappingPKfPfffffjjj,@function
_Z11toneMappingPKfPfffffjjj:            ; @_Z11toneMappingPKfPfffffjjj
; %bb.0:
	s_load_dword s0, s[4:5], 0x3c
	s_load_dwordx4 s[16:19], s[4:5], 0x20
	s_load_dwordx8 s[8:15], s[4:5], 0x0
	v_mov_b32_e32 v7, 0
	v_mov_b32_e32 v3, v7
	s_waitcnt lgkmcnt(0)
	s_lshr_b32 s1, s0, 16
	s_and_b32 s0, s0, 0xffff
	s_mul_i32 s6, s6, s0
	s_mul_i32 s7, s7, s1
	v_add_u32_e32 v9, s6, v0
	v_add_u32_e32 v15, s7, v1
	s_mul_i32 s6, s17, s16
	v_mul_lo_u32 v16, v15, s6
	v_mul_lo_u32 v14, v9, s17
	v_mov_b32_e32 v8, s9
	v_mov_b32_e32 v5, v7
	s_add_i32 s2, s16, -1
	v_add_u32_e32 v6, v16, v14
	v_lshlrev_b64 v[0:1], 2, v[6:7]
	v_add_u32_e32 v2, 1, v6
	v_add_co_u32_e32 v12, vcc, s8, v0
	v_lshlrev_b64 v[2:3], 2, v[2:3]
	v_addc_co_u32_e32 v13, vcc, v8, v1, vcc
	v_add_u32_e32 v4, 2, v6
	v_add_co_u32_e32 v17, vcc, s8, v2
	v_lshlrev_b64 v[4:5], 2, v[4:5]
	v_addc_co_u32_e32 v18, vcc, v8, v3, vcc
	v_add_co_u32_e32 v19, vcc, s8, v4
	v_addc_co_u32_e32 v20, vcc, v8, v5, vcc
	global_load_dword v10, v[17:18], off
	global_load_dword v11, v[12:13], off
	;; [unrolled: 1-line block ×3, first 2 shown]
	v_cmp_ne_u32_e32 vcc, 0, v9
	v_cmp_ne_u32_e64 s[0:1], 0, v15
	v_cmp_ne_u32_e64 s[2:3], s2, v9
	s_add_i32 s4, s18, -1
	s_and_b64 s[0:1], vcc, s[0:1]
	v_cmp_ne_u32_e64 s[4:5], s4, v15
	s_and_b64 s[0:1], s[2:3], s[0:1]
	s_and_b64 s[2:3], s[4:5], s[0:1]
	s_waitcnt vmcnt(2)
	v_mul_f32_e32 v9, 0x3f371759, v10
	s_waitcnt vmcnt(1)
	v_fmac_f32_e32 v9, 0x3e59b3d0, v11
	s_waitcnt vmcnt(0)
	v_fmac_f32_e32 v9, 0x3d93dd98, v8
	v_mov_b32_e32 v12, v9
	s_and_saveexec_b64 s[0:1], s[2:3]
	s_cbranch_execz .LBB0_2
; %bb.1:
	v_subrev_u32_e32 v15, s6, v16
	v_subrev_u32_e32 v19, s17, v14
	v_add_u32_e32 v12, v15, v19
	v_mov_b32_e32 v13, v7
	v_lshlrev_b64 v[17:18], 2, v[12:13]
	v_mov_b32_e32 v13, s9
	v_add_co_u32_e32 v17, vcc, s8, v17
	v_addc_co_u32_e32 v18, vcc, v13, v18, vcc
	global_load_dword v20, v[17:18], off
	v_add_u32_e32 v17, 1, v12
	v_mov_b32_e32 v18, v7
	v_lshlrev_b64 v[17:18], 2, v[17:18]
	v_add_u32_e32 v12, 2, v12
	v_add_co_u32_e32 v17, vcc, s8, v17
	v_addc_co_u32_e32 v18, vcc, v13, v18, vcc
	v_mov_b32_e32 v13, v7
	v_lshlrev_b64 v[12:13], 2, v[12:13]
	global_load_dword v17, v[17:18], off
	v_add_co_u32_e32 v12, vcc, s8, v12
	v_mov_b32_e32 v18, s9
	v_addc_co_u32_e32 v13, vcc, v18, v13, vcc
	global_load_dword v13, v[12:13], off
	v_mov_b32_e32 v18, v7
	v_mov_b32_e32 v24, s9
	s_waitcnt vmcnt(1)
	v_mul_f32_e32 v12, 0x3f371759, v17
	v_add_u32_e32 v17, v15, v14
	v_fmac_f32_e32 v12, 0x3e59b3d0, v20
	v_lshlrev_b64 v[20:21], 2, v[17:18]
	v_add_co_u32_e32 v20, vcc, s8, v20
	s_waitcnt vmcnt(0)
	v_fmac_f32_e32 v12, 0x3d93dd98, v13
	v_mov_b32_e32 v13, s9
	v_addc_co_u32_e32 v21, vcc, v13, v21, vcc
	global_load_dword v22, v[20:21], off
	v_add_u32_e32 v20, 1, v17
	v_mov_b32_e32 v21, v7
	v_lshlrev_b64 v[20:21], 2, v[20:21]
	v_add_u32_e32 v17, 2, v17
	v_add_co_u32_e32 v20, vcc, s8, v20
	v_addc_co_u32_e32 v21, vcc, v13, v21, vcc
	global_load_dword v13, v[20:21], off
	v_lshlrev_b64 v[17:18], 2, v[17:18]
	v_mov_b32_e32 v20, s9
	v_add_co_u32_e32 v17, vcc, s8, v17
	v_addc_co_u32_e32 v18, vcc, v20, v18, vcc
	global_load_dword v17, v[17:18], off
	v_lshl_add_u32 v18, s17, 1, v19
	v_add_u32_e32 v20, v15, v18
	v_mov_b32_e32 v21, v7
	v_mov_b32_e32 v15, s9
	s_waitcnt vmcnt(1)
	v_mul_f32_e32 v13, 0x3f371759, v13
	v_fmac_f32_e32 v13, 0x3e59b3d0, v22
	v_lshlrev_b64 v[21:22], 2, v[20:21]
	v_add_co_u32_e32 v21, vcc, s8, v21
	v_addc_co_u32_e32 v22, vcc, v15, v22, vcc
	s_waitcnt vmcnt(0)
	v_fmac_f32_e32 v13, 0x3d93dd98, v17
	global_load_dword v17, v[21:22], off
	v_add_u32_e32 v21, 1, v20
	v_mov_b32_e32 v22, v7
	v_lshlrev_b64 v[21:22], 2, v[21:22]
	v_add_u32_e32 v20, 2, v20
	v_add_co_u32_e32 v21, vcc, s8, v21
	v_addc_co_u32_e32 v22, vcc, v15, v22, vcc
	global_load_dword v15, v[21:22], off
	v_mov_b32_e32 v21, v7
	v_lshlrev_b64 v[20:21], 2, v[20:21]
	v_mov_b32_e32 v22, s9
	v_add_co_u32_e32 v20, vcc, s8, v20
	v_addc_co_u32_e32 v21, vcc, v22, v21, vcc
	global_load_dword v20, v[20:21], off
	v_mov_b32_e32 v21, v7
	v_add_f32_e32 v12, v12, v13
	s_waitcnt vmcnt(1)
	v_mul_f32_e32 v15, 0x3f371759, v15
	v_fmac_f32_e32 v15, 0x3e59b3d0, v17
	v_mov_b32_e32 v17, s9
	s_waitcnt vmcnt(0)
	v_fmac_f32_e32 v15, 0x3d93dd98, v20
	v_add_u32_e32 v20, v16, v19
	v_lshlrev_b64 v[21:22], 2, v[20:21]
	v_add_f32_e32 v12, v12, v15
	v_add_co_u32_e32 v21, vcc, s8, v21
	v_addc_co_u32_e32 v22, vcc, v17, v22, vcc
	global_load_dword v23, v[21:22], off
	v_add_u32_e32 v21, 1, v20
	v_mov_b32_e32 v22, v7
	v_lshlrev_b64 v[21:22], 2, v[21:22]
	v_add_u32_e32 v20, 2, v20
	v_add_co_u32_e32 v21, vcc, s8, v21
	v_addc_co_u32_e32 v22, vcc, v17, v22, vcc
	global_load_dword v17, v[21:22], off
	v_mov_b32_e32 v21, v7
	v_lshlrev_b64 v[20:21], 2, v[20:21]
	v_mov_b32_e32 v22, s9
	v_add_co_u32_e32 v20, vcc, s8, v20
	v_addc_co_u32_e32 v21, vcc, v22, v21, vcc
	global_load_dword v20, v[20:21], off
	v_mov_b32_e32 v21, v7
	s_waitcnt vmcnt(1)
	v_mul_f32_e32 v17, 0x3f371759, v17
	v_fmac_f32_e32 v17, 0x3e59b3d0, v23
	v_mov_b32_e32 v23, s9
	s_waitcnt vmcnt(0)
	v_fmac_f32_e32 v17, 0x3d93dd98, v20
	v_add_u32_e32 v20, v16, v18
	v_lshlrev_b64 v[21:22], 2, v[20:21]
	v_add_f32_e32 v12, v12, v17
	v_add_co_u32_e32 v21, vcc, s8, v21
	v_addc_co_u32_e32 v22, vcc, v23, v22, vcc
	global_load_dword v23, v[21:22], off
	v_add_u32_e32 v21, 1, v20
	v_mov_b32_e32 v22, v7
	v_lshlrev_b64 v[21:22], 2, v[21:22]
	v_add_u32_e32 v20, 2, v20
	v_add_co_u32_e32 v21, vcc, s8, v21
	v_addc_co_u32_e32 v22, vcc, v24, v22, vcc
	global_load_dword v22, v[21:22], off
	v_mov_b32_e32 v21, v7
	v_lshlrev_b64 v[20:21], 2, v[20:21]
	v_add_co_u32_e32 v20, vcc, s8, v20
	v_addc_co_u32_e32 v21, vcc, v24, v21, vcc
	global_load_dword v21, v[20:21], off
	v_add_u32_e32 v24, s6, v16
	v_mov_b32_e32 v16, s9
	v_add_u32_e32 v18, v24, v18
	s_waitcnt vmcnt(1)
	v_mul_f32_e32 v20, 0x3f371759, v22
	v_fmac_f32_e32 v20, 0x3e59b3d0, v23
	v_mov_b32_e32 v22, v7
	s_waitcnt vmcnt(0)
	v_fmac_f32_e32 v20, 0x3d93dd98, v21
	v_add_u32_e32 v21, v24, v19
	v_lshlrev_b64 v[22:23], 2, v[21:22]
	v_add_f32_e32 v12, v12, v20
	v_add_co_u32_e32 v22, vcc, s8, v22
	v_addc_co_u32_e32 v23, vcc, v16, v23, vcc
	global_load_dword v19, v[22:23], off
	v_add_u32_e32 v22, 1, v21
	v_mov_b32_e32 v23, v7
	v_lshlrev_b64 v[22:23], 2, v[22:23]
	v_add_u32_e32 v21, 2, v21
	v_add_co_u32_e32 v22, vcc, s8, v22
	v_addc_co_u32_e32 v23, vcc, v16, v23, vcc
	global_load_dword v16, v[22:23], off
	v_mov_b32_e32 v22, v7
	v_lshlrev_b64 v[21:22], 2, v[21:22]
	v_mov_b32_e32 v23, s9
	v_add_co_u32_e32 v21, vcc, s8, v21
	v_addc_co_u32_e32 v22, vcc, v23, v22, vcc
	global_load_dword v21, v[21:22], off
	v_mov_b32_e32 v22, v7
	s_waitcnt vmcnt(1)
	v_mul_f32_e32 v16, 0x3f371759, v16
	v_fmac_f32_e32 v16, 0x3e59b3d0, v19
	s_waitcnt vmcnt(0)
	v_fmac_f32_e32 v16, 0x3d93dd98, v21
	v_add_u32_e32 v21, v24, v14
	v_lshlrev_b64 v[22:23], 2, v[21:22]
	v_mov_b32_e32 v14, s9
	v_add_co_u32_e32 v22, vcc, s8, v22
	v_addc_co_u32_e32 v23, vcc, v14, v23, vcc
	global_load_dword v19, v[22:23], off
	v_add_u32_e32 v22, 1, v21
	v_mov_b32_e32 v23, v7
	v_lshlrev_b64 v[22:23], 2, v[22:23]
	v_add_u32_e32 v21, 2, v21
	v_add_co_u32_e32 v22, vcc, s8, v22
	v_addc_co_u32_e32 v23, vcc, v14, v23, vcc
	global_load_dword v14, v[22:23], off
	v_mov_b32_e32 v22, v7
	v_lshlrev_b64 v[21:22], 2, v[21:22]
	v_mov_b32_e32 v23, s9
	v_add_co_u32_e32 v21, vcc, s8, v21
	v_addc_co_u32_e32 v22, vcc, v23, v22, vcc
	global_load_dword v21, v[21:22], off
	v_add_f32_e32 v12, v12, v16
	s_waitcnt vmcnt(1)
	v_mul_f32_e32 v14, 0x3f371759, v14
	v_fmac_f32_e32 v14, 0x3e59b3d0, v19
	v_mov_b32_e32 v19, v7
	s_waitcnt vmcnt(0)
	v_fmac_f32_e32 v14, 0x3d93dd98, v21
	v_lshlrev_b64 v[21:22], 2, v[18:19]
	v_mov_b32_e32 v19, s9
	v_add_co_u32_e32 v21, vcc, s8, v21
	v_addc_co_u32_e32 v22, vcc, v19, v22, vcc
	global_load_dword v23, v[21:22], off
	v_add_u32_e32 v21, 1, v18
	v_mov_b32_e32 v22, v7
	v_lshlrev_b64 v[21:22], 2, v[21:22]
	v_add_u32_e32 v18, 2, v18
	v_add_co_u32_e32 v21, vcc, s8, v21
	v_addc_co_u32_e32 v22, vcc, v19, v22, vcc
	v_mov_b32_e32 v19, v7
	v_lshlrev_b64 v[18:19], 2, v[18:19]
	global_load_dword v21, v[21:22], off
	v_add_co_u32_e32 v18, vcc, s8, v18
	v_mov_b32_e32 v22, s9
	v_addc_co_u32_e32 v19, vcc, v22, v19, vcc
	global_load_dword v18, v[18:19], off
	v_add_f32_e32 v12, v12, v14
	s_waitcnt vmcnt(1)
	v_mul_f32_e32 v19, 0x3f371759, v21
	v_fmac_f32_e32 v19, 0x3e59b3d0, v23
	s_waitcnt vmcnt(0)
	v_fmac_f32_e32 v19, 0x3d93dd98, v18
	v_add_f32_e32 v12, v12, v19
	v_mul_f32_e32 v12, 0x3e000000, v12
.LBB0_2:
	s_or_b64 exec, exec, s[0:1]
	v_div_scale_f32 v13, s[0:1], v9, v9, v12
	v_div_scale_f32 v14, vcc, v12, v9, v12
	s_mov_b32 s2, 0x800000
	s_mov_b32 s3, 0x3f317217
	;; [unrolled: 1-line block ×3, first 2 shown]
	s_movk_i32 s6, 0x204
	s_mov_b32 s16, 0x3fb8aa3b
	s_mov_b32 s17, 0xc2ce8ed0
	v_add_u32_e32 v6, 3, v6
	v_lshlrev_b64 v[6:7], 2, v[6:7]
	v_rcp_f32_e32 v15, v13
	v_fma_f32 v16, -v13, v15, 1.0
	v_fmac_f32_e32 v15, v16, v15
	v_mul_f32_e32 v16, v14, v15
	v_fma_f32 v17, -v13, v16, v14
	v_fmac_f32_e32 v16, v17, v15
	v_fma_f32 v13, -v13, v16, v14
	v_div_fmas_f32 v13, v13, v15, v16
	v_mov_b32_e32 v14, 0x41b17218
	v_div_scale_f32 v16, s[0:1], v9, v9, v11
	v_mov_b32_e32 v15, s14
	s_mov_b32 s14, 0x3f2aaaab
	v_div_fixup_f32 v13, v13, v9, v12
	v_add_f32_e32 v13, s15, v13
	v_cmp_gt_f32_e32 vcc, s2, v13
	v_cndmask_b32_e64 v17, 0, 32, vcc
	v_ldexp_f32 v13, v13, v17
	v_log_f32_e32 v13, v13
	v_cndmask_b32_e32 v14, 0, v14, vcc
	v_div_scale_f32 v17, s[0:1], v11, v9, v11
	v_mul_f32_e32 v18, 0x3f317217, v13
	v_fma_f32 v18, v13, s3, -v18
	v_fmac_f32_e32 v18, 0x3377d1cf, v13
	v_fmac_f32_e32 v18, 0x3f317217, v13
	v_cmp_lt_f32_e64 vcc, |v13|, s7
	v_cndmask_b32_e32 v13, v13, v18, vcc
	v_sub_f32_e32 v13, v13, v14
	v_mul_f32_e32 v12, v12, v13
	v_fmac_f32_e32 v12, s12, v15
	v_add_f32_e32 v18, v9, v12
	v_div_scale_f32 v12, s[2:3], v18, v18, v9
	v_div_scale_f32 v13, vcc, v9, v18, v9
	v_rcp_f32_e32 v14, v16
	s_mov_b32 s15, 0x42b17218
	s_brev_b32 s12, -2
	v_fma_f32 v15, -v16, v14, 1.0
	v_fmac_f32_e32 v14, v15, v14
	v_mul_f32_e32 v15, v17, v14
	v_fma_f32 v20, -v16, v15, v17
	v_fmac_f32_e32 v15, v20, v14
	v_fma_f32 v16, -v16, v15, v17
	v_rcp_f32_e32 v19, v12
	v_fma_f32 v17, -v12, v19, 1.0
	v_fmac_f32_e32 v19, v17, v19
	v_mul_f32_e32 v17, v13, v19
	v_fma_f32 v20, -v12, v17, v13
	v_fmac_f32_e32 v17, v20, v19
	v_fma_f32 v12, -v12, v17, v13
	v_div_fmas_f32 v21, v12, v19, v17
	s_mov_b64 vcc, s[0:1]
	v_div_fmas_f32 v12, v16, v14, v15
	v_mov_b32_e32 v16, s13
	s_mov_b32 s13, 0x3f317218
	v_mov_b32_e32 v17, 0x3e91f4c4
	v_mov_b32_e32 v13, 0x3ecccdef
	v_div_fixup_f32 v11, v12, v9, v11
	v_cmp_neq_f32_e32 vcc, 1.0, v11
	v_cndmask_b32_e32 v14, 1.0, v16, vcc
	v_cmp_neq_f32_e32 vcc, 0, v14
	v_cndmask_b32_e32 v15, 1.0, v11, vcc
	v_frexp_mant_f32_e64 v19, |v15|
	v_cmp_gt_f32_e32 vcc, s14, v19
	v_cvt_f64_f32_e64 v[11:12], |v15|
	v_cndmask_b32_e64 v20, 1.0, 2.0, vcc
	v_mul_f32_e32 v19, v19, v20
	v_add_f32_e32 v22, 1.0, v19
	v_rcp_f32_e32 v23, v22
	v_frexp_exp_i32_f64_e32 v11, v[11:12]
	v_add_f32_e32 v20, -1.0, v19
	v_add_f32_e32 v24, -1.0, v22
	v_sub_f32_e32 v12, v19, v24
	v_mul_f32_e32 v19, v20, v23
	v_mul_f32_e32 v24, v22, v19
	v_fma_f32 v22, v19, v22, -v24
	v_fmac_f32_e32 v22, v19, v12
	v_add_f32_e32 v12, v24, v22
	v_subbrev_co_u32_e32 v11, vcc, 0, v11, vcc
	v_sub_f32_e32 v25, v20, v12
	v_sub_f32_e32 v24, v12, v24
	v_cvt_f32_i32_e32 v11, v11
	v_sub_f32_e32 v20, v20, v25
	v_sub_f32_e32 v22, v24, v22
	v_sub_f32_e32 v12, v20, v12
	v_add_f32_e32 v12, v22, v12
	v_add_f32_e32 v12, v25, v12
	v_mul_f32_e32 v20, 0x3f317218, v11
	v_mul_f32_e32 v12, v23, v12
	v_fma_f32 v22, v11, s13, -v20
	v_add_f32_e32 v23, v19, v12
	v_fmac_f32_e32 v22, 0xb102e308, v11
	v_sub_f32_e32 v11, v23, v19
	v_mul_f32_e32 v19, v23, v23
	v_sub_f32_e32 v11, v12, v11
	v_add_f32_e32 v25, v20, v22
	v_fma_f32 v12, v23, v23, -v19
	v_add_f32_e32 v26, v11, v11
	v_sub_f32_e32 v20, v25, v20
	v_fmac_f32_e32 v12, v23, v26
	v_sub_f32_e32 v20, v22, v20
	v_add_f32_e32 v22, v19, v12
	v_fmac_f32_e32 v17, 0x3e76c4e1, v22
	v_sub_f32_e32 v19, v22, v19
	v_mul_f32_e32 v26, v23, v22
	v_sub_f32_e32 v12, v12, v19
	v_fma_f32 v17, v22, v17, v13
	v_fma_f32 v19, v22, v23, -v26
	v_ldexp_f32 v27, v11, 1
	v_fmac_f32_e32 v19, v22, v11
	v_mul_f32_e32 v11, v22, v17
	v_fma_f32 v22, v22, v17, -v11
	v_fmac_f32_e32 v19, v12, v23
	v_fmac_f32_e32 v22, v12, v17
	v_add_f32_e32 v12, v26, v19
	v_add_f32_e32 v17, v11, v22
	v_ldexp_f32 v24, v23, 1
	v_sub_f32_e32 v23, v12, v26
	v_sub_f32_e32 v11, v17, v11
	v_add_f32_e32 v26, 0x3f2aaaaa, v17
	v_sub_f32_e32 v11, v22, v11
	v_add_f32_e32 v22, 0xbf2aaaaa, v26
	;; [unrolled: 2-line block ×3, first 2 shown]
	v_add_f32_e32 v11, v11, v17
	v_add_f32_e32 v17, v26, v11
	v_sub_f32_e32 v19, v19, v23
	v_sub_f32_e32 v22, v26, v17
	v_mul_f32_e32 v23, v12, v17
	v_add_f32_e32 v11, v11, v22
	v_fma_f32 v22, v12, v17, -v23
	v_fmac_f32_e32 v22, v12, v11
	v_fmac_f32_e32 v22, v19, v17
	v_add_f32_e32 v11, v23, v22
	v_sub_f32_e32 v12, v11, v23
	v_add_f32_e32 v17, v24, v11
	v_sub_f32_e32 v12, v22, v12
	v_sub_f32_e32 v19, v17, v24
	;; [unrolled: 1-line block ×3, first 2 shown]
	v_add_f32_e32 v12, v27, v12
	v_add_f32_e32 v11, v12, v11
	;; [unrolled: 1-line block ×3, first 2 shown]
	v_sub_f32_e32 v17, v12, v17
	v_sub_f32_e32 v11, v11, v17
	v_add_f32_e32 v17, v25, v12
	v_sub_f32_e32 v19, v17, v25
	v_sub_f32_e32 v22, v17, v19
	;; [unrolled: 1-line block ×4, first 2 shown]
	v_add_f32_e32 v12, v12, v22
	v_add_f32_e32 v19, v20, v11
	v_sub_f32_e32 v22, v19, v20
	v_add_f32_e32 v12, v19, v12
	v_sub_f32_e32 v23, v19, v22
	;; [unrolled: 2-line block ×3, first 2 shown]
	v_sub_f32_e32 v11, v11, v22
	v_sub_f32_e32 v17, v19, v17
	v_add_f32_e32 v11, v11, v20
	v_sub_f32_e32 v12, v12, v17
	v_add_f32_e32 v11, v11, v12
	v_add_f32_e32 v12, v19, v11
	v_sub_f32_e32 v17, v12, v19
	v_sub_f32_e32 v11, v11, v17
	v_mul_f32_e32 v17, v14, v12
	v_fma_f32 v12, v14, v12, -v17
	v_fmac_f32_e32 v12, v14, v11
	v_add_f32_e32 v11, v17, v12
	v_cmp_class_f32_e64 vcc, v17, s6
	v_cndmask_b32_e32 v22, v11, v17, vcc
	v_sub_f32_e32 v19, v11, v17
	v_mov_b32_e32 v17, 0x37000000
	v_cmp_eq_f32_e32 vcc, s15, v22
	v_cndmask_b32_e32 v23, 0, v17, vcc
	v_sub_f32_e32 v11, v22, v23
	v_sub_f32_e32 v19, v12, v19
	v_mul_f32_e32 v12, 0x3fb8aa3b, v11
	v_fma_f32 v20, v11, s16, -v12
	v_rndne_f32_e32 v24, v12
	v_fmac_f32_e32 v20, 0x32a5705f, v11
	v_sub_f32_e32 v12, v12, v24
	v_add_f32_e32 v12, v12, v20
	v_cmp_neq_f32_e64 vcc, |v22|, s7
	v_div_scale_f32 v22, s[0:1], v9, v9, v10
	v_exp_f32_e32 v12, v12
	v_cvt_i32_f32_e32 v20, v24
	v_cndmask_b32_e32 v19, 0, v19, vcc
	v_cmp_ngt_f32_e32 vcc, s17, v11
	v_add_f32_e32 v19, v23, v19
	v_ldexp_f32 v12, v12, v20
	v_cndmask_b32_e32 v20, 0, v12, vcc
	v_div_scale_f32 v23, vcc, v10, v9, v10
	v_mov_b32_e32 v12, 0x7f800000
	v_cmp_nlt_f32_e64 s[0:1], s15, v11
	v_cndmask_b32_e64 v11, v12, v20, s[0:1]
	v_fma_f32 v19, v11, v19, v11
	v_cmp_class_f32_e64 s[0:1], v11, s6
	v_trunc_f32_e32 v20, v14
	v_cndmask_b32_e64 v19, v19, v11, s[0:1]
	v_cmp_eq_f32_e64 s[0:1], v20, v14
	v_rcp_f32_e32 v20, v22
	v_mul_f32_e32 v24, 0.5, v14
	v_trunc_f32_e32 v25, v24
	v_cmp_neq_f32_e64 s[2:3], v25, v24
	v_fma_f32 v24, -v22, v20, 1.0
	v_fmac_f32_e32 v20, v24, v20
	v_mul_f32_e32 v24, v23, v20
	v_fma_f32 v25, -v22, v24, v23
	v_fmac_f32_e32 v24, v25, v20
	v_fma_f32 v22, -v22, v24, v23
	v_div_fmas_f32 v20, v22, v20, v24
	s_and_b64 vcc, s[0:1], s[2:3]
	v_cndmask_b32_e32 v22, 1.0, v15, vcc
	v_mov_b32_e32 v11, 0x7fc00000
	v_bfi_b32 v19, s12, v19, v22
	v_cndmask_b32_e64 v22, v11, v19, s[0:1]
	v_cmp_gt_f32_e64 s[0:1], 0, v15
	v_cndmask_b32_e64 v19, v19, v22, s[0:1]
	v_cmp_neq_f32_e64 s[0:1], v14, |v14|
	v_cmp_lt_f32_e64 s[2:3], |v15|, 1.0
	s_xor_b64 s[0:1], s[0:1], s[2:3]
	v_cndmask_b32_e64 v22, v12, 0, s[0:1]
	v_cmp_neq_f32_e64 s[0:1], |v15|, 1.0
	v_cndmask_b32_e64 v22, 1.0, v22, s[0:1]
	v_cmp_class_f32_e64 s[0:1], v14, s6
	v_cndmask_b32_e64 v24, v19, v22, s[0:1]
	v_div_fixup_f32 v10, v20, v9, v10
	v_cmp_neq_f32_e64 s[0:1], 1.0, v10
	v_cndmask_b32_e64 v19, 1.0, v16, s[0:1]
	v_cmp_neq_f32_e64 s[0:1], 0, v19
	v_cndmask_b32_e64 v20, 1.0, v10, s[0:1]
	v_frexp_mant_f32_e64 v10, |v20|
	v_cmp_gt_f32_e64 s[0:1], s14, v10
	v_cndmask_b32_e64 v22, 1.0, 2.0, s[0:1]
	v_mul_f32_e32 v10, v10, v22
	v_add_f32_e32 v22, 1.0, v10
	v_rcp_f32_e32 v23, v22
	v_add_f32_e32 v25, -1.0, v22
	v_sub_f32_e32 v25, v10, v25
	v_add_f32_e32 v10, -1.0, v10
	v_mul_f32_e32 v26, v10, v23
	v_mul_f32_e32 v27, v22, v26
	v_fma_f32 v22, v26, v22, -v27
	v_fmac_f32_e32 v22, v26, v25
	v_add_f32_e32 v25, v27, v22
	v_sub_f32_e32 v28, v10, v25
	v_sub_f32_e32 v27, v25, v27
	;; [unrolled: 1-line block ×5, first 2 shown]
	v_add_f32_e32 v10, v22, v10
	v_add_f32_e32 v10, v28, v10
	v_mul_f32_e32 v10, v23, v10
	v_add_f32_e32 v25, v26, v10
	v_sub_f32_e32 v22, v25, v26
	v_sub_f32_e32 v26, v10, v22
	v_mul_f32_e32 v10, v25, v25
	v_fma_f32 v22, v25, v25, -v10
	v_add_f32_e32 v23, v26, v26
	v_fmac_f32_e32 v22, v25, v23
	v_add_f32_e32 v23, v10, v22
	v_sub_f32_e32 v10, v23, v10
	v_sub_f32_e32 v10, v22, v10
	v_mov_b32_e32 v22, 0x3e91f4c4
	v_fmac_f32_e32 v22, 0x3e76c4e1, v23
	v_fma_f32 v22, v23, v22, v13
	v_mul_f32_e32 v27, v25, v23
	v_fma_f32 v28, v23, v25, -v27
	v_mul_f32_e32 v29, v23, v22
	v_fmac_f32_e32 v28, v23, v26
	v_fma_f32 v23, v23, v22, -v29
	v_fmac_f32_e32 v23, v10, v22
	v_fmac_f32_e32 v28, v10, v25
	v_add_f32_e32 v10, v29, v23
	v_sub_f32_e32 v22, v10, v29
	v_sub_f32_e32 v22, v23, v22
	v_add_f32_e32 v23, 0x3f2aaaaa, v10
	v_add_f32_e32 v29, 0xbf2aaaaa, v23
	v_sub_f32_e32 v10, v10, v29
	v_add_f32_e32 v22, 0x31739010, v22
	v_add_f32_e32 v10, v22, v10
	;; [unrolled: 1-line block ×3, first 2 shown]
	v_sub_f32_e32 v23, v23, v22
	v_add_f32_e32 v10, v10, v23
	v_add_f32_e32 v23, v27, v28
	v_mul_f32_e32 v29, v23, v22
	v_fma_f32 v30, v23, v22, -v29
	v_fmac_f32_e32 v30, v23, v10
	v_sub_f32_e32 v10, v23, v27
	v_sub_f32_e32 v10, v28, v10
	v_fmac_f32_e32 v30, v10, v22
	v_cvt_f64_f32_e64 v[22:23], |v20|
	v_cmp_eq_f32_e64 s[2:3], 0, v15
	v_cmp_gt_f32_e64 s[4:5], 0, v14
	s_xor_b64 s[4:5], s[4:5], s[2:3]
	v_frexp_exp_i32_f64_e32 v10, v[22:23]
	v_cndmask_b32_e64 v22, v12, 0, s[4:5]
	v_cndmask_b32_e32 v23, 0, v15, vcc
	v_bfi_b32 v22, s12, v22, v23
	v_cmp_class_f32_e64 s[4:5], v15, s6
	v_ldexp_f32 v25, v25, 1
	v_subbrev_co_u32_e64 v10, vcc, 0, v10, s[0:1]
	v_cvt_f32_i32_e32 v23, v10
	v_div_fixup_f32 v10, v21, v18, v9
	s_or_b64 vcc, s[2:3], s[4:5]
	v_cndmask_b32_e32 v22, v24, v22, vcc
	v_mul_f32_e32 v18, 0x3f317218, v23
	v_fma_f32 v21, v23, s13, -v18
	v_fmac_f32_e32 v21, 0xb102e308, v23
	v_add_f32_e32 v23, v18, v21
	v_sub_f32_e32 v18, v23, v18
	v_sub_f32_e32 v18, v21, v18
	v_add_f32_e32 v21, v29, v30
	v_add_f32_e32 v27, v25, v21
	v_sub_f32_e32 v24, v21, v29
	v_sub_f32_e32 v25, v27, v25
	;; [unrolled: 1-line block ×4, first 2 shown]
	v_ldexp_f32 v25, v26, 1
	v_add_f32_e32 v24, v25, v24
	v_add_f32_e32 v21, v24, v21
	;; [unrolled: 1-line block ×3, first 2 shown]
	v_sub_f32_e32 v25, v24, v27
	v_sub_f32_e32 v21, v21, v25
	v_add_f32_e32 v25, v23, v24
	v_sub_f32_e32 v26, v25, v23
	v_sub_f32_e32 v27, v25, v26
	;; [unrolled: 1-line block ×4, first 2 shown]
	v_add_f32_e32 v23, v24, v23
	v_add_f32_e32 v24, v18, v21
	v_sub_f32_e32 v26, v24, v18
	v_sub_f32_e32 v27, v24, v26
	v_sub_f32_e32 v18, v18, v27
	v_sub_f32_e32 v21, v21, v26
	v_add_f32_e32 v18, v21, v18
	v_add_f32_e32 v21, v24, v23
	;; [unrolled: 1-line block ×3, first 2 shown]
	v_sub_f32_e32 v24, v23, v25
	v_sub_f32_e32 v21, v21, v24
	v_add_f32_e32 v18, v18, v21
	v_add_f32_e32 v21, v23, v18
	v_sub_f32_e32 v23, v21, v23
	v_sub_f32_e32 v18, v18, v23
	v_mul_f32_e32 v23, v19, v21
	v_fma_f32 v21, v19, v21, -v23
	v_fmac_f32_e32 v21, v19, v18
	v_add_f32_e32 v18, v23, v21
	v_cmp_class_f32_e64 vcc, v23, s6
	v_sub_f32_e32 v24, v18, v23
	v_cndmask_b32_e32 v23, v18, v23, vcc
	v_cmp_eq_f32_e32 vcc, s15, v23
	v_sub_f32_e32 v21, v21, v24
	v_cndmask_b32_e32 v24, 0, v17, vcc
	v_sub_f32_e32 v18, v23, v24
	v_mul_f32_e32 v25, 0x3fb8aa3b, v18
	v_fma_f32 v26, v18, s16, -v25
	v_rndne_f32_e32 v27, v25
	v_fmac_f32_e32 v26, 0x32a5705f, v18
	v_sub_f32_e32 v25, v25, v27
	v_cmp_neq_f32_e64 vcc, |v23|, s7
	v_add_f32_e32 v25, v25, v26
	v_cndmask_b32_e32 v21, 0, v21, vcc
	v_exp_f32_e32 v25, v25
	v_cvt_i32_f32_e32 v26, v27
	v_add_f32_e32 v21, v24, v21
	v_div_scale_f32 v24, s[0:1], v9, v9, v8
	v_ldexp_f32 v23, v25, v26
	v_cmp_ngt_f32_e32 vcc, s17, v18
	v_cndmask_b32_e32 v23, 0, v23, vcc
	v_cmp_nlt_f32_e32 vcc, s15, v18
	v_cndmask_b32_e32 v18, v12, v23, vcc
	v_div_scale_f32 v23, vcc, v8, v9, v8
	v_fma_f32 v21, v18, v21, v18
	v_cmp_class_f32_e64 s[0:1], v18, s6
	v_cndmask_b32_e64 v18, v21, v18, s[0:1]
	v_trunc_f32_e32 v21, v19
	v_cmp_eq_f32_e64 s[0:1], v21, v19
	v_mul_f32_e32 v21, 0.5, v19
	v_trunc_f32_e32 v25, v21
	v_cmp_neq_f32_e64 s[2:3], v25, v21
	s_and_b64 s[2:3], s[0:1], s[2:3]
	v_cndmask_b32_e64 v21, 1.0, v20, s[2:3]
	v_bfi_b32 v18, s12, v18, v21
	v_rcp_f32_e32 v21, v24
	v_cndmask_b32_e64 v25, v11, v18, s[0:1]
	v_cmp_gt_f32_e64 s[0:1], 0, v20
	v_cndmask_b32_e64 v18, v18, v25, s[0:1]
	v_fma_f32 v25, -v24, v21, 1.0
	v_fmac_f32_e32 v21, v25, v21
	v_mul_f32_e32 v25, v23, v21
	v_fma_f32 v26, -v24, v25, v23
	v_fmac_f32_e32 v25, v26, v21
	v_fma_f32 v23, -v24, v25, v23
	v_div_fmas_f32 v21, v23, v21, v25
	v_cmp_neq_f32_e64 s[0:1], v19, |v19|
	v_cmp_lt_f32_e64 s[4:5], |v20|, 1.0
	s_xor_b64 s[0:1], s[0:1], s[4:5]
	v_cndmask_b32_e64 v23, v12, 0, s[0:1]
	v_cmp_neq_f32_e64 vcc, |v20|, 1.0
	v_cndmask_b32_e32 v23, 1.0, v23, vcc
	v_cmp_class_f32_e64 vcc, v19, s6
	v_cndmask_b32_e32 v18, v18, v23, vcc
	v_cmp_eq_f32_e32 vcc, 0, v20
	v_cmp_gt_f32_e64 s[0:1], 0, v19
	s_xor_b64 s[0:1], s[0:1], vcc
	v_cmp_class_f32_e64 s[4:5], v20, s6
	v_cndmask_b32_e64 v23, v12, 0, s[0:1]
	v_cndmask_b32_e64 v24, 0, v20, s[2:3]
	v_bfi_b32 v23, s12, v23, v24
	s_or_b64 vcc, vcc, s[4:5]
	v_div_fixup_f32 v9, v21, v9, v8
	v_cndmask_b32_e32 v18, v18, v23, vcc
	v_cmp_neq_f32_e32 vcc, 1.0, v9
	v_cndmask_b32_e32 v8, 1.0, v16, vcc
	v_cmp_neq_f32_e32 vcc, 0, v8
	v_cndmask_b32_e32 v9, 1.0, v9, vcc
	v_frexp_mant_f32_e64 v16, |v9|
	v_cmp_gt_f32_e32 vcc, s14, v16
	v_cndmask_b32_e64 v21, 1.0, 2.0, vcc
	v_mul_f32_e32 v16, v16, v21
	v_add_f32_e32 v21, 1.0, v16
	v_rcp_f32_e32 v23, v21
	v_add_f32_e32 v24, -1.0, v16
	v_add_f32_e32 v25, -1.0, v21
	v_sub_f32_e32 v16, v16, v25
	v_mul_f32_e32 v25, v24, v23
	v_mul_f32_e32 v26, v21, v25
	v_fma_f32 v21, v25, v21, -v26
	v_fmac_f32_e32 v21, v25, v16
	v_add_f32_e32 v16, v26, v21
	v_sub_f32_e32 v27, v24, v16
	v_sub_f32_e32 v26, v16, v26
	;; [unrolled: 1-line block ×5, first 2 shown]
	v_add_f32_e32 v16, v21, v16
	v_add_f32_e32 v16, v27, v16
	v_mul_f32_e32 v16, v23, v16
	v_add_f32_e32 v21, v25, v16
	v_sub_f32_e32 v23, v21, v25
	v_sub_f32_e32 v16, v16, v23
	v_mul_f32_e32 v23, v21, v21
	v_fma_f32 v25, v21, v21, -v23
	v_add_f32_e32 v26, v16, v16
	v_fmac_f32_e32 v25, v21, v26
	v_mov_b32_e32 v24, 0x3e91f4c4
	v_add_f32_e32 v26, v23, v25
	v_fmac_f32_e32 v24, 0x3e76c4e1, v26
	v_sub_f32_e32 v23, v26, v23
	v_fmac_f32_e32 v13, v26, v24
	v_sub_f32_e32 v23, v25, v23
	v_mul_f32_e32 v25, v21, v26
	v_fma_f32 v27, v26, v21, -v25
	v_mul_f32_e32 v24, v26, v13
	v_fmac_f32_e32 v27, v26, v16
	v_fma_f32 v26, v26, v13, -v24
	v_fmac_f32_e32 v26, v23, v13
	v_add_f32_e32 v13, v24, v26
	v_fmac_f32_e32 v27, v23, v21
	v_add_f32_e32 v23, 0x3f2aaaaa, v13
	v_sub_f32_e32 v24, v13, v24
	v_sub_f32_e32 v24, v26, v24
	v_add_f32_e32 v26, 0xbf2aaaaa, v23
	v_add_f32_e32 v24, 0x31739010, v24
	v_sub_f32_e32 v13, v13, v26
	v_add_f32_e32 v13, v24, v13
	v_add_f32_e32 v26, v23, v13
	v_sub_f32_e32 v23, v23, v26
	v_add_f32_e32 v13, v13, v23
	v_cvt_f64_f32_e64 v[23:24], |v9|
	v_cmp_o_f32_e64 s[0:1], v15, v14
	v_cmp_neq_f32_e64 s[2:3], v8, |v8|
	v_cmp_lt_f32_e64 s[4:5], |v9|, 1.0
	v_frexp_exp_i32_f64_e32 v23, v[23:24]
	v_add_f32_e32 v24, v25, v27
	v_mul_f32_e32 v28, v24, v26
	v_fma_f32 v29, v24, v26, -v28
	v_fmac_f32_e32 v29, v24, v13
	v_sub_f32_e32 v24, v24, v25
	v_cndmask_b32_e64 v13, v11, v22, s[0:1]
	v_cmp_o_f32_e64 s[0:1], v20, v19
	v_subbrev_co_u32_e32 v15, vcc, 0, v23, vcc
	v_cvt_f32_i32_e32 v15, v15
	v_cndmask_b32_e64 v14, v11, v18, s[0:1]
	v_sub_f32_e32 v18, v27, v24
	v_fmac_f32_e32 v29, v18, v26
	v_mul_f32_e32 v18, 0x3f317218, v15
	v_fma_f32 v19, v15, s13, -v18
	v_fmac_f32_e32 v19, 0xb102e308, v15
	v_add_f32_e32 v20, v18, v19
	v_sub_f32_e32 v18, v20, v18
	v_ldexp_f32 v15, v16, 1
	v_ldexp_f32 v16, v21, 1
	v_sub_f32_e32 v18, v19, v18
	v_add_f32_e32 v19, v28, v29
	v_sub_f32_e32 v21, v19, v28
	v_add_f32_e32 v22, v16, v19
	v_sub_f32_e32 v21, v29, v21
	v_sub_f32_e32 v16, v22, v16
	;; [unrolled: 1-line block ×3, first 2 shown]
	v_add_f32_e32 v15, v15, v21
	v_add_f32_e32 v15, v15, v16
	;; [unrolled: 1-line block ×3, first 2 shown]
	v_sub_f32_e32 v19, v16, v22
	v_sub_f32_e32 v15, v15, v19
	v_add_f32_e32 v19, v20, v16
	v_sub_f32_e32 v21, v19, v20
	v_sub_f32_e32 v22, v19, v21
	;; [unrolled: 1-line block ×4, first 2 shown]
	v_add_f32_e32 v16, v16, v20
	v_add_f32_e32 v20, v18, v15
	v_sub_f32_e32 v21, v20, v18
	v_sub_f32_e32 v22, v20, v21
	;; [unrolled: 1-line block ×4, first 2 shown]
	v_add_f32_e32 v16, v20, v16
	v_add_f32_e32 v15, v15, v18
	;; [unrolled: 1-line block ×3, first 2 shown]
	v_sub_f32_e32 v19, v18, v19
	v_sub_f32_e32 v16, v16, v19
	v_add_f32_e32 v15, v15, v16
	v_add_f32_e32 v16, v18, v15
	v_sub_f32_e32 v18, v16, v18
	v_sub_f32_e32 v15, v15, v18
	v_mul_f32_e32 v18, v8, v16
	v_fma_f32 v19, v8, v16, -v18
	v_fmac_f32_e32 v19, v8, v15
	v_mov_b32_e32 v16, s9
	v_add_co_u32_e32 v15, vcc, s8, v6
	v_addc_co_u32_e32 v16, vcc, v16, v7, vcc
	global_load_dword v15, v[15:16], off
	v_add_f32_e32 v20, v18, v19
	v_cmp_class_f32_e64 vcc, v18, s6
	v_sub_f32_e32 v21, v20, v18
	v_cndmask_b32_e32 v18, v20, v18, vcc
	v_cmp_eq_f32_e32 vcc, s15, v18
	v_cndmask_b32_e32 v17, 0, v17, vcc
	v_sub_f32_e32 v16, v19, v21
	v_sub_f32_e32 v19, v18, v17
	v_mul_f32_e32 v20, 0x3fb8aa3b, v19
	v_fma_f32 v21, v19, s16, -v20
	v_rndne_f32_e32 v22, v20
	v_fmac_f32_e32 v21, 0x32a5705f, v19
	v_sub_f32_e32 v20, v20, v22
	v_add_f32_e32 v20, v20, v21
	v_exp_f32_e32 v20, v20
	v_cvt_i32_f32_e32 v21, v22
	v_cmp_neq_f32_e64 vcc, |v18|, s7
	v_cndmask_b32_e32 v16, 0, v16, vcc
	v_add_f32_e32 v16, v17, v16
	v_ldexp_f32 v17, v20, v21
	v_cmp_ngt_f32_e32 vcc, s17, v19
	v_cndmask_b32_e32 v17, 0, v17, vcc
	v_cmp_nlt_f32_e32 vcc, s15, v19
	v_cndmask_b32_e32 v17, v12, v17, vcc
	v_fma_f32 v16, v17, v16, v17
	v_cmp_class_f32_e64 vcc, v17, s6
	v_cndmask_b32_e32 v16, v16, v17, vcc
	v_trunc_f32_e32 v17, v8
	v_cmp_eq_f32_e32 vcc, v17, v8
	v_mul_f32_e32 v17, 0.5, v8
	v_trunc_f32_e32 v18, v17
	v_cmp_neq_f32_e64 s[0:1], v18, v17
	s_and_b64 s[0:1], vcc, s[0:1]
	v_cndmask_b32_e64 v17, 1.0, v9, s[0:1]
	v_bfi_b32 v16, s12, v16, v17
	v_cndmask_b32_e32 v17, v11, v16, vcc
	v_cmp_gt_f32_e32 vcc, 0, v9
	s_xor_b64 s[2:3], s[2:3], s[4:5]
	v_cndmask_b32_e32 v16, v16, v17, vcc
	v_cndmask_b32_e64 v17, v12, 0, s[2:3]
	v_cmp_neq_f32_e64 vcc, |v9|, 1.0
	v_cndmask_b32_e32 v17, 1.0, v17, vcc
	v_cmp_class_f32_e64 vcc, v8, s6
	v_cndmask_b32_e32 v16, v16, v17, vcc
	v_cmp_eq_f32_e32 vcc, 0, v9
	v_cmp_gt_f32_e64 s[2:3], 0, v8
	s_xor_b64 s[2:3], s[2:3], vcc
	v_cmp_class_f32_e64 s[4:5], v9, s6
	v_cndmask_b32_e64 v12, v12, 0, s[2:3]
	v_cndmask_b32_e64 v17, 0, v9, s[0:1]
	v_bfi_b32 v12, s12, v12, v17
	s_or_b64 vcc, vcc, s[4:5]
	v_cndmask_b32_e32 v12, v16, v12, vcc
	v_cmp_o_f32_e32 vcc, v9, v8
	v_cndmask_b32_e32 v8, v11, v12, vcc
	v_mov_b32_e32 v9, s11
	v_add_co_u32_e32 v0, vcc, s10, v0
	v_mul_f32_e32 v13, v13, v10
	v_addc_co_u32_e32 v1, vcc, v9, v1, vcc
	global_store_dword v[0:1], v13, off
	v_mov_b32_e32 v1, s11
	v_add_co_u32_e32 v0, vcc, s10, v2
	v_mul_f32_e32 v14, v14, v10
	v_addc_co_u32_e32 v1, vcc, v1, v3, vcc
	global_store_dword v[0:1], v14, off
	;; [unrolled: 5-line block ×3, first 2 shown]
	v_mov_b32_e32 v1, s11
	v_add_co_u32_e32 v0, vcc, s10, v6
	v_addc_co_u32_e32 v1, vcc, v1, v7, vcc
	s_waitcnt vmcnt(3)
	global_store_dword v[0:1], v15, off
	s_endpgm
	.section	.rodata,"a",@progbits
	.p2align	6, 0x0
	.amdhsa_kernel _Z11toneMappingPKfPfffffjjj
		.amdhsa_group_segment_fixed_size 0
		.amdhsa_private_segment_fixed_size 0
		.amdhsa_kernarg_size 304
		.amdhsa_user_sgpr_count 6
		.amdhsa_user_sgpr_private_segment_buffer 1
		.amdhsa_user_sgpr_dispatch_ptr 0
		.amdhsa_user_sgpr_queue_ptr 0
		.amdhsa_user_sgpr_kernarg_segment_ptr 1
		.amdhsa_user_sgpr_dispatch_id 0
		.amdhsa_user_sgpr_flat_scratch_init 0
		.amdhsa_user_sgpr_private_segment_size 0
		.amdhsa_uses_dynamic_stack 0
		.amdhsa_system_sgpr_private_segment_wavefront_offset 0
		.amdhsa_system_sgpr_workgroup_id_x 1
		.amdhsa_system_sgpr_workgroup_id_y 1
		.amdhsa_system_sgpr_workgroup_id_z 0
		.amdhsa_system_sgpr_workgroup_info 0
		.amdhsa_system_vgpr_workitem_id 1
		.amdhsa_next_free_vgpr 31
		.amdhsa_next_free_sgpr 20
		.amdhsa_reserve_vcc 1
		.amdhsa_reserve_flat_scratch 0
		.amdhsa_float_round_mode_32 0
		.amdhsa_float_round_mode_16_64 0
		.amdhsa_float_denorm_mode_32 3
		.amdhsa_float_denorm_mode_16_64 3
		.amdhsa_dx10_clamp 1
		.amdhsa_ieee_mode 1
		.amdhsa_fp16_overflow 0
		.amdhsa_exception_fp_ieee_invalid_op 0
		.amdhsa_exception_fp_denorm_src 0
		.amdhsa_exception_fp_ieee_div_zero 0
		.amdhsa_exception_fp_ieee_overflow 0
		.amdhsa_exception_fp_ieee_underflow 0
		.amdhsa_exception_fp_ieee_inexact 0
		.amdhsa_exception_int_div_zero 0
	.end_amdhsa_kernel
	.text
.Lfunc_end0:
	.size	_Z11toneMappingPKfPfffffjjj, .Lfunc_end0-_Z11toneMappingPKfPfffffjjj
                                        ; -- End function
	.set _Z11toneMappingPKfPfffffjjj.num_vgpr, 31
	.set _Z11toneMappingPKfPfffffjjj.num_agpr, 0
	.set _Z11toneMappingPKfPfffffjjj.numbered_sgpr, 20
	.set _Z11toneMappingPKfPfffffjjj.num_named_barrier, 0
	.set _Z11toneMappingPKfPfffffjjj.private_seg_size, 0
	.set _Z11toneMappingPKfPfffffjjj.uses_vcc, 1
	.set _Z11toneMappingPKfPfffffjjj.uses_flat_scratch, 0
	.set _Z11toneMappingPKfPfffffjjj.has_dyn_sized_stack, 0
	.set _Z11toneMappingPKfPfffffjjj.has_recursion, 0
	.set _Z11toneMappingPKfPfffffjjj.has_indirect_call, 0
	.section	.AMDGPU.csdata,"",@progbits
; Kernel info:
; codeLenInByte = 4708
; TotalNumSgprs: 24
; NumVgprs: 31
; ScratchSize: 0
; MemoryBound: 0
; FloatMode: 240
; IeeeMode: 1
; LDSByteSize: 0 bytes/workgroup (compile time only)
; SGPRBlocks: 2
; VGPRBlocks: 7
; NumSGPRsForWavesPerEU: 24
; NumVGPRsForWavesPerEU: 31
; Occupancy: 8
; WaveLimiterHint : 0
; COMPUTE_PGM_RSRC2:SCRATCH_EN: 0
; COMPUTE_PGM_RSRC2:USER_SGPR: 6
; COMPUTE_PGM_RSRC2:TRAP_HANDLER: 0
; COMPUTE_PGM_RSRC2:TGID_X_EN: 1
; COMPUTE_PGM_RSRC2:TGID_Y_EN: 1
; COMPUTE_PGM_RSRC2:TGID_Z_EN: 0
; COMPUTE_PGM_RSRC2:TIDIG_COMP_CNT: 1
	.section	.AMDGPU.gpr_maximums,"",@progbits
	.set amdgpu.max_num_vgpr, 0
	.set amdgpu.max_num_agpr, 0
	.set amdgpu.max_num_sgpr, 0
	.section	.AMDGPU.csdata,"",@progbits
	.type	__hip_cuid_434ebc8435236167,@object ; @__hip_cuid_434ebc8435236167
	.section	.bss,"aw",@nobits
	.globl	__hip_cuid_434ebc8435236167
__hip_cuid_434ebc8435236167:
	.byte	0                               ; 0x0
	.size	__hip_cuid_434ebc8435236167, 1

	.ident	"AMD clang version 22.0.0git (https://github.com/RadeonOpenCompute/llvm-project roc-7.2.4 26084 f58b06dce1f9c15707c5f808fd002e18c2accf7e)"
	.section	".note.GNU-stack","",@progbits
	.addrsig
	.addrsig_sym __hip_cuid_434ebc8435236167
	.amdgpu_metadata
---
amdhsa.kernels:
  - .args:
      - .actual_access:  read_only
        .address_space:  global
        .offset:         0
        .size:           8
        .value_kind:     global_buffer
      - .actual_access:  write_only
        .address_space:  global
        .offset:         8
        .size:           8
        .value_kind:     global_buffer
      - .offset:         16
        .size:           4
        .value_kind:     by_value
      - .offset:         20
        .size:           4
        .value_kind:     by_value
      - .offset:         24
        .size:           4
        .value_kind:     by_value
      - .offset:         28
        .size:           4
        .value_kind:     by_value
      - .offset:         32
        .size:           4
        .value_kind:     by_value
      - .offset:         36
        .size:           4
        .value_kind:     by_value
      - .offset:         40
        .size:           4
        .value_kind:     by_value
      - .offset:         48
        .size:           4
        .value_kind:     hidden_block_count_x
      - .offset:         52
        .size:           4
        .value_kind:     hidden_block_count_y
      - .offset:         56
        .size:           4
        .value_kind:     hidden_block_count_z
      - .offset:         60
        .size:           2
        .value_kind:     hidden_group_size_x
      - .offset:         62
        .size:           2
        .value_kind:     hidden_group_size_y
      - .offset:         64
        .size:           2
        .value_kind:     hidden_group_size_z
      - .offset:         66
        .size:           2
        .value_kind:     hidden_remainder_x
      - .offset:         68
        .size:           2
        .value_kind:     hidden_remainder_y
      - .offset:         70
        .size:           2
        .value_kind:     hidden_remainder_z
      - .offset:         88
        .size:           8
        .value_kind:     hidden_global_offset_x
      - .offset:         96
        .size:           8
        .value_kind:     hidden_global_offset_y
      - .offset:         104
        .size:           8
        .value_kind:     hidden_global_offset_z
      - .offset:         112
        .size:           2
        .value_kind:     hidden_grid_dims
    .group_segment_fixed_size: 0
    .kernarg_segment_align: 8
    .kernarg_segment_size: 304
    .language:       OpenCL C
    .language_version:
      - 2
      - 0
    .max_flat_workgroup_size: 1024
    .name:           _Z11toneMappingPKfPfffffjjj
    .private_segment_fixed_size: 0
    .sgpr_count:     24
    .sgpr_spill_count: 0
    .symbol:         _Z11toneMappingPKfPfffffjjj.kd
    .uniform_work_group_size: 1
    .uses_dynamic_stack: false
    .vgpr_count:     31
    .vgpr_spill_count: 0
    .wavefront_size: 64
amdhsa.target:   amdgcn-amd-amdhsa--gfx906
amdhsa.version:
  - 1
  - 2
...

	.end_amdgpu_metadata
